;; amdgpu-corpus repo=zjin-lcf/HeCBench kind=compiled arch=gfx906 opt=O3
	.amdgcn_target "amdgcn-amd-amdhsa--gfx906"
	.amdhsa_code_object_version 6
	.text
	.protected	_Z11ccsd_kernelPKdS0_S0_S0_S0_S0_S0_S0_S0_S0_S0_S0_S0_S0_S0_dPdS1_S1_S1_iii ; -- Begin function _Z11ccsd_kernelPKdS0_S0_S0_S0_S0_S0_S0_S0_S0_S0_S0_S0_S0_S0_dPdS1_S1_S1_iii
	.globl	_Z11ccsd_kernelPKdS0_S0_S0_S0_S0_S0_S0_S0_S0_S0_S0_S0_S0_S0_dPdS1_S1_S1_iii
	.p2align	8
	.type	_Z11ccsd_kernelPKdS0_S0_S0_S0_S0_S0_S0_S0_S0_S0_S0_S0_S0_S0_dPdS1_S1_S1_iii,@function
_Z11ccsd_kernelPKdS0_S0_S0_S0_S0_S0_S0_S0_S0_S0_S0_S0_S0_S0_dPdS1_S1_S1_iii: ; @_Z11ccsd_kernelPKdS0_S0_S0_S0_S0_S0_S0_S0_S0_S0_S0_S0_S0_S0_dPdS1_S1_S1_iii
; %bb.0:
	s_load_dword s8, s[4:5], 0xbc
	s_load_dwordx4 s[0:3], s[4:5], 0xa0
	v_mov_b32_e32 v8, 0
	v_mov_b32_e32 v6, 0
	;; [unrolled: 1-line block ×3, first 2 shown]
	s_waitcnt lgkmcnt(0)
	s_lshr_b32 s9, s8, 16
	s_and_b32 s3, s8, 0xffff
	s_mul_i32 s6, s6, s3
	s_mul_i32 s7, s7, s9
	v_add_u32_e32 v4, s6, v0
	v_add_u32_e32 v2, s7, v1
	v_max_i32_e32 v3, v4, v2
	v_mov_b32_e32 v12, 0
	v_mov_b32_e32 v9, 0
	;; [unrolled: 1-line block ×5, first 2 shown]
	v_cmp_gt_i32_e32 vcc, s2, v3
	s_and_saveexec_b64 s[6:7], vcc
	s_cbranch_execz .LBB0_2
; %bb.1:
	s_load_dwordx8 s[8:15], s[4:5], 0x60
	s_add_i32 s0, s1, s0
	v_add_u32_e32 v5, s0, v4
	v_ashrrev_i32_e32 v6, 31, v5
	v_lshlrev_b64 v[5:6], 3, v[5:6]
	s_waitcnt lgkmcnt(0)
	v_mov_b32_e32 v3, s13
	v_add_co_u32_e32 v9, vcc, s12, v5
	v_add_u32_e32 v5, s0, v2
	v_addc_co_u32_e32 v10, vcc, v3, v6, vcc
	v_ashrrev_i32_e32 v6, 31, v5
	v_lshlrev_b64 v[5:6], 3, v[5:6]
	v_mov_b32_e32 v50, s11
	v_add_co_u32_e32 v11, vcc, s12, v5
	v_addc_co_u32_e32 v12, vcc, v3, v6, vcc
	global_load_dwordx2 v[5:6], v[9:10], off
	global_load_dwordx2 v[7:8], v[11:12], off
	v_mad_u64_u32 v[9:10], s[0:1], v4, s2, v[2:3]
	s_load_dwordx8 s[16:23], s[4:5], 0x0
	s_load_dwordx8 s[24:31], s[4:5], 0x20
	;; [unrolled: 1-line block ×3, first 2 shown]
	v_mov_b32_e32 v52, s9
	v_ashrrev_i32_e32 v10, 31, v9
	s_waitcnt lgkmcnt(0)
	v_mov_b32_e32 v3, s17
	v_lshlrev_b64 v[34:35], 3, v[9:10]
	v_mov_b32_e32 v13, s19
	v_mov_b32_e32 v14, s23
	;; [unrolled: 1-line block ×17, first 2 shown]
	s_waitcnt vmcnt(1)
	v_mad_u64_u32 v[11:12], s[0:1], v2, s2, v[4:5]
	s_waitcnt vmcnt(0)
	v_add_f64 v[5:6], v[5:6], v[7:8]
	v_ashrrev_i32_e32 v12, 31, v11
	v_lshlrev_b64 v[24:25], 3, v[11:12]
	v_mov_b32_e32 v12, s19
	v_add_co_u32_e32 v9, vcc, s16, v24
	v_addc_co_u32_e32 v10, vcc, v3, v25, vcc
	v_add_co_u32_e32 v11, vcc, s18, v24
	v_addc_co_u32_e32 v12, vcc, v12, v25, vcc
	;; [unrolled: 2-line block ×4, first 2 shown]
	v_add_co_u32_e32 v20, vcc, s20, v34
	v_add_f64 v[38:39], s[14:15], v[5:6]
	v_addc_co_u32_e32 v21, vcc, v15, v35, vcc
	v_add_co_u32_e32 v26, vcc, s26, v24
	v_addc_co_u32_e32 v27, vcc, v22, v25, vcc
	v_add_co_u32_e32 v28, vcc, s24, v34
	;; [unrolled: 2-line block ×3, first 2 shown]
	v_addc_co_u32_e32 v23, vcc, v31, v35, vcc
	global_load_dwordx2 v[14:15], v[9:10], off
	global_load_dwordx2 v[6:7], v[16:17], off
	s_nop 0
	global_load_dwordx2 v[16:17], v[11:12], off
	v_div_scale_f64 v[40:41], s[0:1], v[38:39], v[38:39], -1.0
	global_load_dwordx2 v[8:9], v[22:23], off
	v_add_co_u32_e32 v12, vcc, s22, v34
	v_addc_co_u32_e32 v13, vcc, v32, v35, vcc
	global_load_dwordx2 v[18:19], v[18:19], off
	s_nop 0
	global_load_dwordx2 v[10:11], v[20:21], off
	global_load_dwordx2 v[22:23], v[12:13], off
	v_add_co_u32_e32 v20, vcc, s24, v24
	v_addc_co_u32_e32 v21, vcc, v33, v25, vcc
	global_load_dwordx2 v[12:13], v[26:27], off
	global_load_dwordx2 v[32:33], v[28:29], off
	s_nop 0
	global_load_dwordx2 v[20:21], v[20:21], off
	v_add_co_u32_e32 v26, vcc, s30, v24
	v_addc_co_u32_e32 v27, vcc, v30, v25, vcc
	v_rcp_f64_e32 v[42:43], v[40:41]
	v_add_co_u32_e32 v28, vcc, s28, v34
	v_addc_co_u32_e32 v29, vcc, v36, v35, vcc
	global_load_dwordx2 v[26:27], v[26:27], off
	s_nop 0
	global_load_dwordx2 v[36:37], v[28:29], off
	v_add_co_u32_e32 v28, vcc, s20, v24
	v_addc_co_u32_e32 v29, vcc, v44, v25, vcc
	global_load_dwordx2 v[30:31], v[28:29], off
	v_add_co_u32_e32 v24, vcc, s28, v24
	v_addc_co_u32_e32 v25, vcc, v46, v25, vcc
	v_add_co_u32_e32 v28, vcc, s26, v34
	v_fma_f64 v[44:45], -v[40:41], v[42:43], 1.0
	v_addc_co_u32_e32 v29, vcc, v47, v35, vcc
	global_load_dwordx2 v[28:29], v[28:29], off
	s_nop 0
	global_load_dwordx2 v[24:25], v[24:25], off
	v_add_co_u32_e32 v34, vcc, s30, v34
	v_addc_co_u32_e32 v35, vcc, v48, v35, vcc
	v_fma_f64 v[42:43], v[42:43], v[44:45], v[42:43]
	global_load_dwordx2 v[34:35], v[34:35], off
	v_div_scale_f64 v[44:45], vcc, -1.0, v[38:39], -1.0
	v_ashrrev_i32_e32 v5, 31, v4
	v_lshlrev_b64 v[4:5], 3, v[4:5]
	v_mov_b32_e32 v48, s41
	v_ashrrev_i32_e32 v3, 31, v2
	v_fma_f64 v[46:47], -v[40:41], v[42:43], 1.0
	v_lshlrev_b64 v[2:3], 3, v[2:3]
	v_fma_f64 v[42:43], v[42:43], v[46:47], v[42:43]
	v_add_co_u32_e64 v46, s[0:1], s40, v4
	v_addc_co_u32_e64 v47, s[0:1], v48, v5, s[0:1]
	v_add_co_u32_e64 v4, s[0:1], s10, v4
	v_addc_co_u32_e64 v5, s[0:1], v50, v5, s[0:1]
	v_mul_f64 v[48:49], v[44:45], v[42:43]
	v_add_co_u32_e64 v50, s[0:1], s38, v2
	v_addc_co_u32_e64 v51, s[0:1], v51, v3, s[0:1]
	v_fma_f64 v[40:41], -v[40:41], v[48:49], v[44:45]
	v_add_co_u32_e64 v44, s[0:1], s8, v2
	v_addc_co_u32_e64 v45, s[0:1], v52, v3, s[0:1]
	s_waitcnt vmcnt(14)
	v_add_f64 v[52:53], v[14:15], v[6:7]
	s_mov_b32 s0, 0
	s_waitcnt vmcnt(12)
	v_add_f64 v[54:55], v[16:17], v[8:9]
	v_div_fmas_f64 v[40:41], v[40:41], v[42:43], v[48:49]
	v_add_co_u32_e32 v42, vcc, s36, v2
	s_waitcnt vmcnt(11)
	v_fma_f64 v[48:49], v[16:17], 2.0, -v[18:19]
	v_addc_co_u32_e32 v43, vcc, v56, v3, vcc
	s_waitcnt vmcnt(10)
	v_add_f64 v[52:53], v[52:53], v[10:11]
	s_waitcnt vmcnt(9)
	v_add_f64 v[54:55], v[54:55], v[22:23]
	v_add_co_u32_e32 v56, vcc, s42, v2
	v_addc_co_u32_e32 v57, vcc, v57, v3, vcc
	v_fma_f64 v[58:59], v[18:19], -2.0, v[16:17]
	s_waitcnt vmcnt(8)
	v_add_f64 v[48:49], v[48:49], -v[12:13]
	s_waitcnt vmcnt(7)
	v_add_f64 v[60:61], v[52:53], v[32:33]
	s_waitcnt vmcnt(6)
	v_add_f64 v[62:63], v[54:55], v[20:21]
	v_div_fixup_f64 v[2:3], v[40:41], v[38:39], -1.0
	global_load_dwordx2 v[38:39], v[46:47], off
	s_nop 0
	global_load_dwordx2 v[42:43], v[42:43], off
	s_nop 0
	;; [unrolled: 2-line block ×4, first 2 shown]
	global_load_dwordx2 v[56:57], v[56:57], off
	v_fma_f64 v[40:41], v[12:13], -2.0, v[58:59]
	s_waitcnt vmcnt(10)
	v_fma_f64 v[46:47], v[26:27], 2.0, v[48:49]
	v_add_f64 v[52:53], v[52:53], v[12:13]
	s_waitcnt vmcnt(9)
	v_add_f64 v[48:49], v[62:63], v[36:37]
	v_mul_f64 v[58:59], v[2:3], v[60:61]
	s_waitcnt vmcnt(8)
	v_fma_f64 v[60:61], v[14:15], 2.0, -v[30:31]
	global_load_dwordx2 v[44:45], v[44:45], off
	s_mov_b32 s1, 0x40080000
	v_add_f64 v[40:41], v[40:41], v[26:27]
	v_mul_f64 v[48:49], v[2:3], v[48:49]
	v_mul_f64 v[46:47], v[58:59], v[46:47]
	v_fma_f64 v[58:59], v[30:31], -2.0, v[14:15]
	v_add_f64 v[60:61], v[60:61], -v[20:21]
	s_waitcnt vmcnt(8)
	v_add_f64 v[54:55], v[54:55], v[28:29]
	v_fma_f64 v[40:41], v[40:41], v[48:49], -v[46:47]
	s_waitcnt vmcnt(7)
	v_add_f64 v[46:47], v[12:13], v[24:25]
	v_fma_f64 v[48:49], v[20:21], -2.0, v[58:59]
	v_fma_f64 v[58:59], v[24:25], 2.0, v[60:61]
	s_waitcnt vmcnt(6)
	v_add_f64 v[52:53], v[52:53], v[34:35]
	v_mul_f64 v[54:55], v[2:3], v[54:55]
	v_add_f64 v[60:61], v[10:11], v[46:47]
	v_add_f64 v[48:49], v[48:49], v[24:25]
	v_mul_f64 v[52:53], v[2:3], v[52:53]
	v_mul_f64 v[54:55], v[54:55], v[58:59]
	v_add_f64 v[58:59], v[14:15], v[60:61]
	v_add_f64 v[60:61], v[14:15], v[32:33]
	v_fma_f64 v[48:49], v[48:49], v[52:53], -v[54:55]
	v_add_f64 v[52:53], v[16:17], v[30:31]
	v_add_f64 v[54:55], v[18:19], v[58:59]
	;; [unrolled: 1-line block ×3, first 2 shown]
	v_fma_f64 v[60:61], v[34:35], 2.0, v[60:61]
	v_add_f64 v[52:53], v[52:53], v[36:37]
	v_add_f64 v[32:33], v[32:33], v[54:55]
	v_add_f64 v[54:55], v[20:21], v[26:27]
	v_fma_f64 v[36:37], v[36:37], 2.0, v[58:59]
	v_mul_f64 v[58:59], v[14:15], v[60:61]
	v_add_f64 v[60:61], v[30:31], v[20:21]
	v_fma_f64 v[32:33], v[32:33], -2.0, v[52:53]
	v_add_f64 v[52:53], v[22:23], v[54:55]
	v_mul_f64 v[36:37], v[16:17], v[36:37]
	v_fma_f64 v[58:59], v[30:31], v[22:23], v[58:59]
	v_add_f64 v[22:23], v[22:23], v[60:61]
	v_add_f64 v[60:61], v[14:15], v[24:25]
	v_add_f64 v[14:15], v[14:15], v[18:19]
	v_add_f64 v[52:53], v[16:17], v[52:53]
	v_add_f64 v[16:17], v[16:17], v[26:27]
	v_fma_f64 v[20:21], v[20:21], v[26:27], v[58:59]
	v_add_f64 v[60:61], v[6:7], v[60:61]
	v_add_f64 v[14:15], v[14:15], v[34:35]
	;; [unrolled: 1-line block ×3, first 2 shown]
	s_waitcnt vmcnt(5)
	v_mul_f64 v[26:27], v[2:3], v[38:39]
	v_add_f64 v[30:31], v[30:31], v[52:53]
	v_add_f64 v[52:53], v[18:19], v[12:13]
	v_fma_f64 v[18:19], v[18:19], v[10:11], v[36:37]
	v_add_f64 v[16:17], v[8:9], v[16:17]
	s_waitcnt vmcnt(3)
	v_mul_f64 v[4:5], v[2:3], v[4:5]
	v_fma_f64 v[22:23], v[22:23], -2.0, v[60:61]
	v_add_f64 v[8:9], v[8:9], v[54:55]
	v_mul_f64 v[2:3], v[2:3], s[0:1]
	v_add_f64 v[28:29], v[28:29], v[30:31]
	v_add_f64 v[10:11], v[10:11], v[52:53]
	v_mul_f64 v[30:31], v[26:27], v[42:43]
	v_fma_f64 v[18:19], v[12:13], v[24:25], v[18:19]
	s_waitcnt vmcnt(2)
	v_mul_f64 v[24:25], v[26:27], v[50:51]
	v_fma_f64 v[8:9], v[8:9], 4.0, v[32:33]
	v_fma_f64 v[12:13], v[28:29], -2.0, v[14:15]
	v_fma_f64 v[10:11], v[10:11], -2.0, v[16:17]
	s_waitcnt vmcnt(1)
	v_mul_f64 v[14:15], v[4:5], v[56:57]
	v_mul_f64 v[16:17], v[22:23], v[30:31]
	s_waitcnt vmcnt(0)
	v_mul_f64 v[4:5], v[4:5], v[44:45]
	v_fma_f64 v[22:23], v[6:7], 4.0, v[12:13]
	v_fma_f64 v[12:13], v[2:3], v[20:21], v[40:41]
	v_mul_f64 v[14:15], v[10:11], v[14:15]
	v_fma_f64 v[10:11], v[2:3], v[18:19], v[48:49]
	v_fma_f64 v[6:7], v[24:25], v[8:9], v[16:17]
	;; [unrolled: 1-line block ×3, first 2 shown]
.LBB0_2:
	s_or_b64 exec, exec, s[6:7]
	v_mov_b32_dpp v2, v12 quad_perm:[1,0,3,2] row_mask:0xf bank_mask:0xf bound_ctrl:1
	v_mov_b32_dpp v3, v13 quad_perm:[1,0,3,2] row_mask:0xf bank_mask:0xf bound_ctrl:1
	v_add_f64 v[2:3], v[12:13], v[2:3]
	s_nop 1
	v_mov_b32_dpp v4, v2 quad_perm:[2,3,0,1] row_mask:0xf bank_mask:0xf bound_ctrl:1
	v_mov_b32_dpp v5, v3 quad_perm:[2,3,0,1] row_mask:0xf bank_mask:0xf bound_ctrl:1
	v_add_f64 v[2:3], v[2:3], v[4:5]
	s_nop 1
	v_mov_b32_dpp v4, v2 row_ror:4 row_mask:0xf bank_mask:0xf bound_ctrl:1
	v_mov_b32_dpp v5, v3 row_ror:4 row_mask:0xf bank_mask:0xf bound_ctrl:1
	v_add_f64 v[2:3], v[2:3], v[4:5]
	s_nop 1
	v_mov_b32_dpp v4, v2 row_ror:8 row_mask:0xf bank_mask:0xf bound_ctrl:1
	v_mov_b32_dpp v5, v3 row_ror:8 row_mask:0xf bank_mask:0xf bound_ctrl:1
	v_add_f64 v[2:3], v[2:3], v[4:5]
	s_nop 1
	v_mov_b32_dpp v4, v2 row_bcast:15 row_mask:0xf bank_mask:0xf bound_ctrl:1
	v_mov_b32_dpp v5, v3 row_bcast:15 row_mask:0xf bank_mask:0xf bound_ctrl:1
	v_add_f64 v[2:3], v[2:3], v[4:5]
	s_nop 1
	v_mov_b32_dpp v4, v2 row_bcast:31 row_mask:0xf bank_mask:0xf bound_ctrl:1
	v_mov_b32_dpp v5, v3 row_bcast:31 row_mask:0xf bank_mask:0xf bound_ctrl:1
	v_add_f64 v[2:3], v[2:3], v[4:5]
	v_mbcnt_lo_u32_b32 v4, -1, 0
	v_mbcnt_hi_u32_b32 v12, -1, v4
	v_lshlrev_b32_e32 v4, 2, v12
	v_or_b32_e32 v16, 0xfc, v4
	v_mad_u32_u24 v5, v1, s3, v0
	v_cmp_eq_u32_e32 vcc, 0, v12
	v_lshrrev_b32_e32 v15, 3, v5
	ds_bpermute_b32 v2, v16, v2
	ds_bpermute_b32 v3, v16, v3
	s_and_saveexec_b64 s[0:1], vcc
	s_cbranch_execz .LBB0_4
; %bb.3:
	v_and_b32_e32 v13, 0xfffff8, v15
	s_waitcnt lgkmcnt(0)
	ds_write_b64 v13, v[2:3]
.LBB0_4:
	s_or_b64 exec, exec, s[0:1]
	v_cmp_gt_u32_e64 s[0:1], 64, v5
	v_and_b32_e32 v14, 3, v12
	v_or_b32_e32 v13, 8, v4
	s_waitcnt lgkmcnt(0)
	s_barrier
	s_and_saveexec_b64 s[6:7], s[0:1]
	s_cbranch_execz .LBB0_6
; %bb.5:
	v_lshlrev_b32_e32 v2, 3, v14
	ds_read_b64 v[2:3], v2
	v_cmp_ne_u32_e64 s[2:3], 3, v14
	v_addc_co_u32_e64 v4, s[2:3], 0, v12, s[2:3]
	v_lshlrev_b32_e32 v5, 2, v4
	s_waitcnt lgkmcnt(0)
	ds_bpermute_b32 v4, v5, v2
	ds_bpermute_b32 v5, v5, v3
	s_waitcnt lgkmcnt(0)
	v_add_f64 v[2:3], v[2:3], v[4:5]
	ds_bpermute_b32 v4, v13, v2
	ds_bpermute_b32 v5, v13, v3
	s_waitcnt lgkmcnt(0)
	v_add_f64 v[2:3], v[2:3], v[4:5]
.LBB0_6:
	s_or_b64 exec, exec, s[6:7]
	v_mov_b32_dpp v4, v10 quad_perm:[1,0,3,2] row_mask:0xf bank_mask:0xf bound_ctrl:1
	v_mov_b32_dpp v5, v11 quad_perm:[1,0,3,2] row_mask:0xf bank_mask:0xf bound_ctrl:1
	v_add_f64 v[4:5], v[10:11], v[4:5]
	s_nop 1
	v_mov_b32_dpp v10, v4 quad_perm:[2,3,0,1] row_mask:0xf bank_mask:0xf bound_ctrl:1
	v_mov_b32_dpp v11, v5 quad_perm:[2,3,0,1] row_mask:0xf bank_mask:0xf bound_ctrl:1
	v_add_f64 v[4:5], v[4:5], v[10:11]
	s_nop 1
	v_mov_b32_dpp v10, v4 row_ror:4 row_mask:0xf bank_mask:0xf bound_ctrl:1
	v_mov_b32_dpp v11, v5 row_ror:4 row_mask:0xf bank_mask:0xf bound_ctrl:1
	v_add_f64 v[4:5], v[4:5], v[10:11]
	s_nop 1
	v_mov_b32_dpp v10, v4 row_ror:8 row_mask:0xf bank_mask:0xf bound_ctrl:1
	v_mov_b32_dpp v11, v5 row_ror:8 row_mask:0xf bank_mask:0xf bound_ctrl:1
	v_add_f64 v[4:5], v[4:5], v[10:11]
	s_nop 1
	v_mov_b32_dpp v10, v4 row_bcast:15 row_mask:0xf bank_mask:0xf bound_ctrl:1
	v_mov_b32_dpp v11, v5 row_bcast:15 row_mask:0xf bank_mask:0xf bound_ctrl:1
	v_add_f64 v[4:5], v[4:5], v[10:11]
	s_nop 1
	v_mov_b32_dpp v10, v4 row_bcast:31 row_mask:0xf bank_mask:0xf bound_ctrl:1
	v_mov_b32_dpp v11, v5 row_bcast:31 row_mask:0xf bank_mask:0xf bound_ctrl:1
	v_add_f64 v[4:5], v[4:5], v[10:11]
	ds_bpermute_b32 v4, v16, v4
	ds_bpermute_b32 v5, v16, v5
	s_and_saveexec_b64 s[2:3], vcc
	s_cbranch_execz .LBB0_8
; %bb.7:
	v_and_b32_e32 v10, 0xfffff8, v15
	s_waitcnt lgkmcnt(0)
	ds_write_b64 v10, v[4:5] offset:32
.LBB0_8:
	s_or_b64 exec, exec, s[2:3]
	s_waitcnt lgkmcnt(0)
	s_barrier
	s_and_saveexec_b64 s[6:7], s[0:1]
	s_cbranch_execz .LBB0_10
; %bb.9:
	v_lshlrev_b32_e32 v4, 3, v14
	ds_read_b64 v[4:5], v4 offset:32
	v_cmp_ne_u32_e64 s[2:3], 3, v14
	v_addc_co_u32_e64 v10, s[2:3], 0, v12, s[2:3]
	v_lshlrev_b32_e32 v11, 2, v10
	s_waitcnt lgkmcnt(0)
	ds_bpermute_b32 v10, v11, v4
	ds_bpermute_b32 v11, v11, v5
	s_waitcnt lgkmcnt(0)
	v_add_f64 v[4:5], v[4:5], v[10:11]
	ds_bpermute_b32 v10, v13, v4
	ds_bpermute_b32 v11, v13, v5
	s_waitcnt lgkmcnt(0)
	v_add_f64 v[4:5], v[4:5], v[10:11]
.LBB0_10:
	s_or_b64 exec, exec, s[6:7]
	v_mov_b32_dpp v10, v6 quad_perm:[1,0,3,2] row_mask:0xf bank_mask:0xf bound_ctrl:1
	v_mov_b32_dpp v11, v7 quad_perm:[1,0,3,2] row_mask:0xf bank_mask:0xf bound_ctrl:1
	v_add_f64 v[6:7], v[6:7], v[10:11]
	s_nop 1
	v_mov_b32_dpp v10, v6 quad_perm:[2,3,0,1] row_mask:0xf bank_mask:0xf bound_ctrl:1
	v_mov_b32_dpp v11, v7 quad_perm:[2,3,0,1] row_mask:0xf bank_mask:0xf bound_ctrl:1
	v_add_f64 v[6:7], v[6:7], v[10:11]
	s_nop 1
	v_mov_b32_dpp v10, v6 row_ror:4 row_mask:0xf bank_mask:0xf bound_ctrl:1
	v_mov_b32_dpp v11, v7 row_ror:4 row_mask:0xf bank_mask:0xf bound_ctrl:1
	v_add_f64 v[6:7], v[6:7], v[10:11]
	s_nop 1
	v_mov_b32_dpp v10, v6 row_ror:8 row_mask:0xf bank_mask:0xf bound_ctrl:1
	v_mov_b32_dpp v11, v7 row_ror:8 row_mask:0xf bank_mask:0xf bound_ctrl:1
	v_add_f64 v[6:7], v[6:7], v[10:11]
	s_nop 1
	v_mov_b32_dpp v10, v6 row_bcast:15 row_mask:0xf bank_mask:0xf bound_ctrl:1
	v_mov_b32_dpp v11, v7 row_bcast:15 row_mask:0xf bank_mask:0xf bound_ctrl:1
	v_add_f64 v[6:7], v[6:7], v[10:11]
	s_nop 1
	v_mov_b32_dpp v10, v6 row_bcast:31 row_mask:0xf bank_mask:0xf bound_ctrl:1
	v_mov_b32_dpp v11, v7 row_bcast:31 row_mask:0xf bank_mask:0xf bound_ctrl:1
	v_add_f64 v[6:7], v[6:7], v[10:11]
	ds_bpermute_b32 v6, v16, v6
	ds_bpermute_b32 v7, v16, v7
	s_and_saveexec_b64 s[2:3], vcc
	s_cbranch_execz .LBB0_12
; %bb.11:
	v_and_b32_e32 v10, 0xfffff8, v15
	s_waitcnt lgkmcnt(0)
	ds_write_b64 v10, v[6:7] offset:64
.LBB0_12:
	s_or_b64 exec, exec, s[2:3]
	s_waitcnt lgkmcnt(0)
	s_barrier
	s_and_saveexec_b64 s[6:7], s[0:1]
	s_cbranch_execz .LBB0_14
; %bb.13:
	v_lshlrev_b32_e32 v6, 3, v14
	ds_read_b64 v[6:7], v6 offset:64
	v_cmp_ne_u32_e64 s[2:3], 3, v14
	v_addc_co_u32_e64 v10, s[2:3], 0, v12, s[2:3]
	v_lshlrev_b32_e32 v11, 2, v10
	s_waitcnt lgkmcnt(0)
	ds_bpermute_b32 v10, v11, v6
	ds_bpermute_b32 v11, v11, v7
	s_waitcnt lgkmcnt(0)
	v_add_f64 v[6:7], v[6:7], v[10:11]
	ds_bpermute_b32 v10, v13, v6
	ds_bpermute_b32 v11, v13, v7
	s_waitcnt lgkmcnt(0)
	v_add_f64 v[6:7], v[6:7], v[10:11]
.LBB0_14:
	s_or_b64 exec, exec, s[6:7]
	v_mov_b32_dpp v10, v8 quad_perm:[1,0,3,2] row_mask:0xf bank_mask:0xf bound_ctrl:1
	v_mov_b32_dpp v11, v9 quad_perm:[1,0,3,2] row_mask:0xf bank_mask:0xf bound_ctrl:1
	v_add_f64 v[8:9], v[8:9], v[10:11]
	s_nop 1
	v_mov_b32_dpp v10, v8 quad_perm:[2,3,0,1] row_mask:0xf bank_mask:0xf bound_ctrl:1
	v_mov_b32_dpp v11, v9 quad_perm:[2,3,0,1] row_mask:0xf bank_mask:0xf bound_ctrl:1
	v_add_f64 v[8:9], v[8:9], v[10:11]
	s_nop 1
	v_mov_b32_dpp v10, v8 row_ror:4 row_mask:0xf bank_mask:0xf bound_ctrl:1
	v_mov_b32_dpp v11, v9 row_ror:4 row_mask:0xf bank_mask:0xf bound_ctrl:1
	v_add_f64 v[8:9], v[8:9], v[10:11]
	s_nop 1
	v_mov_b32_dpp v10, v8 row_ror:8 row_mask:0xf bank_mask:0xf bound_ctrl:1
	v_mov_b32_dpp v11, v9 row_ror:8 row_mask:0xf bank_mask:0xf bound_ctrl:1
	v_add_f64 v[8:9], v[8:9], v[10:11]
	s_nop 1
	v_mov_b32_dpp v10, v8 row_bcast:15 row_mask:0xf bank_mask:0xf bound_ctrl:1
	v_mov_b32_dpp v11, v9 row_bcast:15 row_mask:0xf bank_mask:0xf bound_ctrl:1
	v_add_f64 v[8:9], v[8:9], v[10:11]
	s_nop 1
	v_mov_b32_dpp v10, v8 row_bcast:31 row_mask:0xf bank_mask:0xf bound_ctrl:1
	v_mov_b32_dpp v11, v9 row_bcast:31 row_mask:0xf bank_mask:0xf bound_ctrl:1
	v_add_f64 v[8:9], v[8:9], v[10:11]
	ds_bpermute_b32 v8, v16, v8
	ds_bpermute_b32 v9, v16, v9
	s_and_saveexec_b64 s[2:3], vcc
	s_cbranch_execz .LBB0_16
; %bb.15:
	v_and_b32_e32 v10, 0xfffff8, v15
	s_waitcnt lgkmcnt(0)
	ds_write_b64 v10, v[8:9] offset:96
.LBB0_16:
	s_or_b64 exec, exec, s[2:3]
	s_waitcnt lgkmcnt(0)
	s_barrier
	s_and_saveexec_b64 s[2:3], s[0:1]
	s_cbranch_execz .LBB0_18
; %bb.17:
	v_lshlrev_b32_e32 v8, 3, v14
	ds_read_b64 v[8:9], v8 offset:96
	v_cmp_ne_u32_e32 vcc, 3, v14
	v_addc_co_u32_e32 v10, vcc, 0, v12, vcc
	v_lshlrev_b32_e32 v11, 2, v10
	s_waitcnt lgkmcnt(0)
	ds_bpermute_b32 v10, v11, v8
	ds_bpermute_b32 v11, v11, v9
	s_waitcnt lgkmcnt(0)
	v_add_f64 v[8:9], v[8:9], v[10:11]
	ds_bpermute_b32 v10, v13, v8
	ds_bpermute_b32 v11, v13, v9
	s_waitcnt lgkmcnt(0)
	v_add_f64 v[8:9], v[8:9], v[10:11]
.LBB0_18:
	s_or_b64 exec, exec, s[2:3]
	v_or_b32_e32 v0, v0, v1
	v_cmp_eq_u32_e32 vcc, 0, v0
	s_and_saveexec_b64 s[0:1], vcc
	s_cbranch_execz .LBB0_42
; %bb.19:
	s_load_dwordx8 s[8:15], s[4:5], 0x80
	v_mov_b32_e32 v10, 0
	s_mov_b64 s[0:1], exec
	v_bfrev_b32_e32 v11, 1
.LBB0_20:                               ; =>This Inner Loop Header: Depth=1
	s_ff1_i32_b64 s4, s[0:1]
	v_readlane_b32 s3, v3, s4
	v_readlane_b32 s2, v2, s4
	v_add_f64 v[10:11], v[10:11], s[2:3]
	s_lshl_b64 s[2:3], 1, s4
	s_andn2_b64 s[0:1], s[0:1], s[2:3]
	s_cmp_lg_u64 s[0:1], 0
	s_cbranch_scc1 .LBB0_20
; %bb.21:
	v_mbcnt_lo_u32_b32 v0, exec_lo, 0
	v_mbcnt_hi_u32_b32 v0, exec_hi, v0
	v_cmp_eq_u32_e32 vcc, 0, v0
	s_and_saveexec_b64 s[0:1], vcc
	s_xor_b64 s[0:1], exec, s[0:1]
	s_cbranch_execz .LBB0_25
; %bb.22:
	s_waitcnt lgkmcnt(0)
	s_load_dwordx2 s[4:5], s[8:9], 0x0
	s_mov_b64 s[2:3], 0
	v_mov_b32_e32 v12, 0
	s_waitcnt lgkmcnt(0)
	v_mov_b32_e32 v2, s4
	v_mov_b32_e32 v3, s5
.LBB0_23:                               ; =>This Inner Loop Header: Depth=1
	v_add_f64 v[0:1], v[2:3], v[10:11]
	global_atomic_cmpswap_x2 v[0:1], v12, v[0:3], s[8:9] glc
	s_waitcnt vmcnt(0)
	v_cmp_eq_u64_e32 vcc, v[0:1], v[2:3]
	v_mov_b32_e32 v3, v1
	s_or_b64 s[2:3], vcc, s[2:3]
	v_mov_b32_e32 v2, v0
	s_andn2_b64 exec, exec, s[2:3]
	s_cbranch_execnz .LBB0_23
; %bb.24:
	s_or_b64 exec, exec, s[2:3]
.LBB0_25:
	s_or_b64 exec, exec, s[0:1]
	v_mov_b32_e32 v10, 0
	s_mov_b64 s[0:1], exec
	v_bfrev_b32_e32 v11, 1
.LBB0_26:                               ; =>This Inner Loop Header: Depth=1
	s_ff1_i32_b64 s4, s[0:1]
	v_readlane_b32 s3, v5, s4
	v_readlane_b32 s2, v4, s4
	v_add_f64 v[10:11], v[10:11], s[2:3]
	s_lshl_b64 s[2:3], 1, s4
	s_andn2_b64 s[0:1], s[0:1], s[2:3]
	s_cmp_lg_u64 s[0:1], 0
	s_cbranch_scc1 .LBB0_26
; %bb.27:
	v_mbcnt_lo_u32_b32 v0, exec_lo, 0
	v_mbcnt_hi_u32_b32 v0, exec_hi, v0
	v_cmp_eq_u32_e32 vcc, 0, v0
	s_and_saveexec_b64 s[0:1], vcc
	s_xor_b64 s[0:1], exec, s[0:1]
	s_cbranch_execz .LBB0_31
; %bb.28:
	s_waitcnt lgkmcnt(0)
	s_load_dwordx2 s[4:5], s[12:13], 0x0
	s_mov_b64 s[2:3], 0
	v_mov_b32_e32 v4, 0
	s_waitcnt lgkmcnt(0)
	v_mov_b32_e32 v2, s4
	v_mov_b32_e32 v3, s5
.LBB0_29:                               ; =>This Inner Loop Header: Depth=1
	v_add_f64 v[0:1], v[2:3], v[10:11]
	global_atomic_cmpswap_x2 v[0:1], v4, v[0:3], s[12:13] glc
	s_waitcnt vmcnt(0)
	v_cmp_eq_u64_e32 vcc, v[0:1], v[2:3]
	v_mov_b32_e32 v3, v1
	s_or_b64 s[2:3], vcc, s[2:3]
	v_mov_b32_e32 v2, v0
	s_andn2_b64 exec, exec, s[2:3]
	s_cbranch_execnz .LBB0_29
; %bb.30:
	s_or_b64 exec, exec, s[2:3]
.LBB0_31:
	s_or_b64 exec, exec, s[0:1]
	;; [unrolled: 41-line block ×3, first 2 shown]
	v_mov_b32_e32 v4, 0
	s_mov_b64 s[0:1], exec
	v_bfrev_b32_e32 v5, 1
.LBB0_38:                               ; =>This Inner Loop Header: Depth=1
	s_ff1_i32_b64 s4, s[0:1]
	v_readlane_b32 s3, v9, s4
	v_readlane_b32 s2, v8, s4
	v_add_f64 v[4:5], v[4:5], s[2:3]
	s_lshl_b64 s[2:3], 1, s4
	s_andn2_b64 s[0:1], s[0:1], s[2:3]
	s_cmp_lg_u64 s[0:1], 0
	s_cbranch_scc1 .LBB0_38
; %bb.39:
	v_mbcnt_lo_u32_b32 v0, exec_lo, 0
	v_mbcnt_hi_u32_b32 v0, exec_hi, v0
	v_cmp_eq_u32_e32 vcc, 0, v0
	s_and_saveexec_b64 s[0:1], vcc
	s_xor_b64 s[0:1], exec, s[0:1]
	s_cbranch_execz .LBB0_42
; %bb.40:
	s_waitcnt lgkmcnt(0)
	s_load_dwordx2 s[2:3], s[14:15], 0x0
	s_mov_b64 s[0:1], 0
	v_mov_b32_e32 v6, 0
	s_waitcnt lgkmcnt(0)
	v_mov_b32_e32 v2, s2
	v_mov_b32_e32 v3, s3
.LBB0_41:                               ; =>This Inner Loop Header: Depth=1
	v_add_f64 v[0:1], v[2:3], v[4:5]
	global_atomic_cmpswap_x2 v[0:1], v6, v[0:3], s[14:15] glc
	s_waitcnt vmcnt(0)
	v_cmp_eq_u64_e32 vcc, v[0:1], v[2:3]
	v_mov_b32_e32 v3, v1
	s_or_b64 s[0:1], vcc, s[0:1]
	v_mov_b32_e32 v2, v0
	s_andn2_b64 exec, exec, s[0:1]
	s_cbranch_execnz .LBB0_41
.LBB0_42:
	s_endpgm
	.section	.rodata,"a",@progbits
	.p2align	6, 0x0
	.amdhsa_kernel _Z11ccsd_kernelPKdS0_S0_S0_S0_S0_S0_S0_S0_S0_S0_S0_S0_S0_S0_dPdS1_S1_S1_iii
		.amdhsa_group_segment_fixed_size 128
		.amdhsa_private_segment_fixed_size 0
		.amdhsa_kernarg_size 432
		.amdhsa_user_sgpr_count 6
		.amdhsa_user_sgpr_private_segment_buffer 1
		.amdhsa_user_sgpr_dispatch_ptr 0
		.amdhsa_user_sgpr_queue_ptr 0
		.amdhsa_user_sgpr_kernarg_segment_ptr 1
		.amdhsa_user_sgpr_dispatch_id 0
		.amdhsa_user_sgpr_flat_scratch_init 0
		.amdhsa_user_sgpr_private_segment_size 0
		.amdhsa_uses_dynamic_stack 0
		.amdhsa_system_sgpr_private_segment_wavefront_offset 0
		.amdhsa_system_sgpr_workgroup_id_x 1
		.amdhsa_system_sgpr_workgroup_id_y 1
		.amdhsa_system_sgpr_workgroup_id_z 0
		.amdhsa_system_sgpr_workgroup_info 0
		.amdhsa_system_vgpr_workitem_id 1
		.amdhsa_next_free_vgpr 64
		.amdhsa_next_free_sgpr 44
		.amdhsa_reserve_vcc 1
		.amdhsa_reserve_flat_scratch 0
		.amdhsa_float_round_mode_32 0
		.amdhsa_float_round_mode_16_64 0
		.amdhsa_float_denorm_mode_32 3
		.amdhsa_float_denorm_mode_16_64 3
		.amdhsa_dx10_clamp 1
		.amdhsa_ieee_mode 1
		.amdhsa_fp16_overflow 0
		.amdhsa_exception_fp_ieee_invalid_op 0
		.amdhsa_exception_fp_denorm_src 0
		.amdhsa_exception_fp_ieee_div_zero 0
		.amdhsa_exception_fp_ieee_overflow 0
		.amdhsa_exception_fp_ieee_underflow 0
		.amdhsa_exception_fp_ieee_inexact 0
		.amdhsa_exception_int_div_zero 0
	.end_amdhsa_kernel
	.text
.Lfunc_end0:
	.size	_Z11ccsd_kernelPKdS0_S0_S0_S0_S0_S0_S0_S0_S0_S0_S0_S0_S0_S0_dPdS1_S1_S1_iii, .Lfunc_end0-_Z11ccsd_kernelPKdS0_S0_S0_S0_S0_S0_S0_S0_S0_S0_S0_S0_S0_S0_dPdS1_S1_S1_iii
                                        ; -- End function
	.set _Z11ccsd_kernelPKdS0_S0_S0_S0_S0_S0_S0_S0_S0_S0_S0_S0_S0_S0_dPdS1_S1_S1_iii.num_vgpr, 64
	.set _Z11ccsd_kernelPKdS0_S0_S0_S0_S0_S0_S0_S0_S0_S0_S0_S0_S0_S0_dPdS1_S1_S1_iii.num_agpr, 0
	.set _Z11ccsd_kernelPKdS0_S0_S0_S0_S0_S0_S0_S0_S0_S0_S0_S0_S0_S0_dPdS1_S1_S1_iii.numbered_sgpr, 44
	.set _Z11ccsd_kernelPKdS0_S0_S0_S0_S0_S0_S0_S0_S0_S0_S0_S0_S0_S0_dPdS1_S1_S1_iii.num_named_barrier, 0
	.set _Z11ccsd_kernelPKdS0_S0_S0_S0_S0_S0_S0_S0_S0_S0_S0_S0_S0_S0_dPdS1_S1_S1_iii.private_seg_size, 0
	.set _Z11ccsd_kernelPKdS0_S0_S0_S0_S0_S0_S0_S0_S0_S0_S0_S0_S0_S0_dPdS1_S1_S1_iii.uses_vcc, 1
	.set _Z11ccsd_kernelPKdS0_S0_S0_S0_S0_S0_S0_S0_S0_S0_S0_S0_S0_S0_dPdS1_S1_S1_iii.uses_flat_scratch, 0
	.set _Z11ccsd_kernelPKdS0_S0_S0_S0_S0_S0_S0_S0_S0_S0_S0_S0_S0_S0_dPdS1_S1_S1_iii.has_dyn_sized_stack, 0
	.set _Z11ccsd_kernelPKdS0_S0_S0_S0_S0_S0_S0_S0_S0_S0_S0_S0_S0_S0_dPdS1_S1_S1_iii.has_recursion, 0
	.set _Z11ccsd_kernelPKdS0_S0_S0_S0_S0_S0_S0_S0_S0_S0_S0_S0_S0_S0_dPdS1_S1_S1_iii.has_indirect_call, 0
	.section	.AMDGPU.csdata,"",@progbits
; Kernel info:
; codeLenInByte = 3700
; TotalNumSgprs: 48
; NumVgprs: 64
; ScratchSize: 0
; MemoryBound: 0
; FloatMode: 240
; IeeeMode: 1
; LDSByteSize: 128 bytes/workgroup (compile time only)
; SGPRBlocks: 5
; VGPRBlocks: 15
; NumSGPRsForWavesPerEU: 48
; NumVGPRsForWavesPerEU: 64
; Occupancy: 4
; WaveLimiterHint : 0
; COMPUTE_PGM_RSRC2:SCRATCH_EN: 0
; COMPUTE_PGM_RSRC2:USER_SGPR: 6
; COMPUTE_PGM_RSRC2:TRAP_HANDLER: 0
; COMPUTE_PGM_RSRC2:TGID_X_EN: 1
; COMPUTE_PGM_RSRC2:TGID_Y_EN: 1
; COMPUTE_PGM_RSRC2:TGID_Z_EN: 0
; COMPUTE_PGM_RSRC2:TIDIG_COMP_CNT: 1
	.section	.AMDGPU.gpr_maximums,"",@progbits
	.set amdgpu.max_num_vgpr, 0
	.set amdgpu.max_num_agpr, 0
	.set amdgpu.max_num_sgpr, 0
	.section	.AMDGPU.csdata,"",@progbits
	.type	__hip_cuid_8cb5fca925bc0a5e,@object ; @__hip_cuid_8cb5fca925bc0a5e
	.section	.bss,"aw",@nobits
	.globl	__hip_cuid_8cb5fca925bc0a5e
__hip_cuid_8cb5fca925bc0a5e:
	.byte	0                               ; 0x0
	.size	__hip_cuid_8cb5fca925bc0a5e, 1

	.ident	"AMD clang version 22.0.0git (https://github.com/RadeonOpenCompute/llvm-project roc-7.2.4 26084 f58b06dce1f9c15707c5f808fd002e18c2accf7e)"
	.section	".note.GNU-stack","",@progbits
	.addrsig
	.addrsig_sym __hip_cuid_8cb5fca925bc0a5e
	.amdgpu_metadata
---
amdhsa.kernels:
  - .args:
      - .actual_access:  read_only
        .address_space:  global
        .offset:         0
        .size:           8
        .value_kind:     global_buffer
      - .actual_access:  read_only
        .address_space:  global
        .offset:         8
        .size:           8
        .value_kind:     global_buffer
      - .actual_access:  read_only
        .address_space:  global
        .offset:         16
        .size:           8
        .value_kind:     global_buffer
      - .actual_access:  read_only
        .address_space:  global
        .offset:         24
        .size:           8
        .value_kind:     global_buffer
      - .actual_access:  read_only
        .address_space:  global
        .offset:         32
        .size:           8
        .value_kind:     global_buffer
      - .actual_access:  read_only
        .address_space:  global
        .offset:         40
        .size:           8
        .value_kind:     global_buffer
      - .actual_access:  read_only
        .address_space:  global
        .offset:         48
        .size:           8
        .value_kind:     global_buffer
      - .actual_access:  read_only
        .address_space:  global
        .offset:         56
        .size:           8
        .value_kind:     global_buffer
      - .actual_access:  read_only
        .address_space:  global
        .offset:         64
        .size:           8
        .value_kind:     global_buffer
      - .actual_access:  read_only
        .address_space:  global
        .offset:         72
        .size:           8
        .value_kind:     global_buffer
      - .actual_access:  read_only
        .address_space:  global
        .offset:         80
        .size:           8
        .value_kind:     global_buffer
      - .actual_access:  read_only
        .address_space:  global
        .offset:         88
        .size:           8
        .value_kind:     global_buffer
      - .actual_access:  read_only
        .address_space:  global
        .offset:         96
        .size:           8
        .value_kind:     global_buffer
      - .actual_access:  read_only
        .address_space:  global
        .offset:         104
        .size:           8
        .value_kind:     global_buffer
      - .actual_access:  read_only
        .address_space:  global
        .offset:         112
        .size:           8
        .value_kind:     global_buffer
      - .offset:         120
        .size:           8
        .value_kind:     by_value
      - .address_space:  global
        .offset:         128
        .size:           8
        .value_kind:     global_buffer
      - .address_space:  global
        .offset:         136
        .size:           8
        .value_kind:     global_buffer
      - .address_space:  global
        .offset:         144
        .size:           8
        .value_kind:     global_buffer
      - .address_space:  global
        .offset:         152
        .size:           8
        .value_kind:     global_buffer
      - .offset:         160
        .size:           4
        .value_kind:     by_value
      - .offset:         164
        .size:           4
        .value_kind:     by_value
      - .offset:         168
        .size:           4
        .value_kind:     by_value
      - .offset:         176
        .size:           4
        .value_kind:     hidden_block_count_x
      - .offset:         180
        .size:           4
        .value_kind:     hidden_block_count_y
      - .offset:         184
        .size:           4
        .value_kind:     hidden_block_count_z
      - .offset:         188
        .size:           2
        .value_kind:     hidden_group_size_x
      - .offset:         190
        .size:           2
        .value_kind:     hidden_group_size_y
      - .offset:         192
        .size:           2
        .value_kind:     hidden_group_size_z
      - .offset:         194
        .size:           2
        .value_kind:     hidden_remainder_x
      - .offset:         196
        .size:           2
        .value_kind:     hidden_remainder_y
      - .offset:         198
        .size:           2
        .value_kind:     hidden_remainder_z
      - .offset:         216
        .size:           8
        .value_kind:     hidden_global_offset_x
      - .offset:         224
        .size:           8
        .value_kind:     hidden_global_offset_y
      - .offset:         232
        .size:           8
        .value_kind:     hidden_global_offset_z
      - .offset:         240
        .size:           2
        .value_kind:     hidden_grid_dims
    .group_segment_fixed_size: 128
    .kernarg_segment_align: 8
    .kernarg_segment_size: 432
    .language:       OpenCL C
    .language_version:
      - 2
      - 0
    .max_flat_workgroup_size: 1024
    .name:           _Z11ccsd_kernelPKdS0_S0_S0_S0_S0_S0_S0_S0_S0_S0_S0_S0_S0_S0_dPdS1_S1_S1_iii
    .private_segment_fixed_size: 0
    .sgpr_count:     48
    .sgpr_spill_count: 0
    .symbol:         _Z11ccsd_kernelPKdS0_S0_S0_S0_S0_S0_S0_S0_S0_S0_S0_S0_S0_S0_dPdS1_S1_S1_iii.kd
    .uniform_work_group_size: 1
    .uses_dynamic_stack: false
    .vgpr_count:     64
    .vgpr_spill_count: 0
    .wavefront_size: 64
amdhsa.target:   amdgcn-amd-amdhsa--gfx906
amdhsa.version:
  - 1
  - 2
...

	.end_amdgpu_metadata
